;; amdgpu-corpus repo=ROCm/rocFFT kind=compiled arch=gfx906 opt=O3
	.text
	.amdgcn_target "amdgcn-amd-amdhsa--gfx906"
	.amdhsa_code_object_version 6
	.protected	fft_rtc_fwd_len104_factors_13_8_wgs_208_tpt_13_half_op_CI_CI_sbcc_twdbase8_3step_dirReg_intrinsicReadWrite ; -- Begin function fft_rtc_fwd_len104_factors_13_8_wgs_208_tpt_13_half_op_CI_CI_sbcc_twdbase8_3step_dirReg_intrinsicReadWrite
	.globl	fft_rtc_fwd_len104_factors_13_8_wgs_208_tpt_13_half_op_CI_CI_sbcc_twdbase8_3step_dirReg_intrinsicReadWrite
	.p2align	8
	.type	fft_rtc_fwd_len104_factors_13_8_wgs_208_tpt_13_half_op_CI_CI_sbcc_twdbase8_3step_dirReg_intrinsicReadWrite,@function
fft_rtc_fwd_len104_factors_13_8_wgs_208_tpt_13_half_op_CI_CI_sbcc_twdbase8_3step_dirReg_intrinsicReadWrite: ; @fft_rtc_fwd_len104_factors_13_8_wgs_208_tpt_13_half_op_CI_CI_sbcc_twdbase8_3step_dirReg_intrinsicReadWrite
; %bb.0:
	s_load_dwordx4 s[0:3], s[4:5], 0x18
	s_load_dwordx2 s[22:23], s[4:5], 0x28
	s_mov_b32 s7, 0
	s_mov_b64 s[30:31], 0
	s_waitcnt lgkmcnt(0)
	s_load_dwordx2 s[20:21], s[0:1], 0x8
	s_waitcnt lgkmcnt(0)
	s_add_u32 s8, s20, -1
	s_addc_u32 s9, s21, -1
	s_lshr_b64 s[8:9], s[8:9], 4
	s_add_u32 s34, s8, 1
	s_addc_u32 s35, s9, 0
	v_mov_b32_e32 v1, s34
	v_mov_b32_e32 v2, s35
	v_cmp_lt_u64_e32 vcc, s[6:7], v[1:2]
	s_cbranch_vccnz .LBB0_2
; %bb.1:
	v_cvt_f32_u32_e32 v1, s34
	s_sub_i32 s8, 0, s34
	s_mov_b32 s31, s7
	v_rcp_iflag_f32_e32 v1, v1
	v_mul_f32_e32 v1, 0x4f7ffffe, v1
	v_cvt_u32_f32_e32 v1, v1
	v_readfirstlane_b32 s9, v1
	s_mul_i32 s8, s8, s9
	s_mul_hi_u32 s8, s9, s8
	s_add_i32 s9, s9, s8
	s_mul_hi_u32 s8, s6, s9
	s_mul_i32 s10, s8, s34
	s_sub_i32 s10, s6, s10
	s_add_i32 s9, s8, 1
	s_sub_i32 s11, s10, s34
	s_cmp_ge_u32 s10, s34
	s_cselect_b32 s8, s9, s8
	s_cselect_b32 s10, s11, s10
	s_add_i32 s9, s8, 1
	s_cmp_ge_u32 s10, s34
	s_cselect_b32 s30, s9, s8
.LBB0_2:
	s_load_dwordx4 s[12:15], s[4:5], 0x60
	s_load_dwordx4 s[24:27], s[2:3], 0x0
	s_load_dwordx4 s[8:11], s[22:23], 0x0
	s_waitcnt lgkmcnt(0)
	s_mul_i32 s9, s30, s35
	s_mul_hi_u32 s16, s30, s34
	s_add_i32 s16, s16, s9
	s_mul_i32 s9, s30, s34
	s_sub_u32 s36, s6, s9
	s_subb_u32 s37, 0, s16
	v_mov_b32_e32 v1, s36
	v_alignbit_b32 v1, s37, v1, 28
	v_mul_lo_u32 v2, s26, v1
	s_load_dwordx2 s[28:29], s[4:5], 0x0
	s_load_dwordx4 s[16:19], s[4:5], 0x8
	s_lshl_b64 s[4:5], s[36:37], 4
	s_mul_hi_u32 s9, s26, s4
	v_mul_lo_u32 v1, s10, v1
	v_add_u32_e32 v2, s9, v2
	s_mul_i32 s9, s27, s4
	v_add_u32_e32 v3, s9, v2
	s_mul_i32 s9, s26, s4
	v_mov_b32_e32 v5, s9
	s_mul_hi_u32 s9, s10, s4
	v_add_u32_e32 v1, s9, v1
	s_mul_i32 s9, s11, s4
	s_waitcnt lgkmcnt(0)
	v_cmp_lt_u64_e64 s[36:37], s[18:19], 3
	v_add_u32_e32 v6, s9, v1
	s_mul_i32 s9, s10, s4
	v_mov_b32_e32 v4, s9
	s_and_b64 vcc, exec, s[36:37]
	s_cbranch_vccnz .LBB0_11
; %bb.3:
	s_add_u32 s36, s22, 16
	s_addc_u32 s37, s23, 0
	s_add_u32 s38, s2, 16
	s_addc_u32 s39, s3, 0
	s_add_u32 s40, s0, 16
	v_mov_b32_e32 v1, s18
	s_addc_u32 s41, s1, 0
	s_mov_b64 s[42:43], 2
	s_mov_b32 s44, 0
	v_mov_b32_e32 v2, s19
	s_branch .LBB0_5
.LBB0_4:                                ;   in Loop: Header=BB0_5 Depth=1
	s_mul_i32 s9, s46, s35
	s_mul_hi_u32 s11, s46, s34
	s_add_i32 s9, s11, s9
	s_mul_i32 s11, s47, s34
	s_add_i32 s35, s9, s11
	s_mul_i32 s9, s0, s47
	s_mul_hi_u32 s11, s0, s46
	s_add_i32 s9, s11, s9
	s_mul_i32 s11, s1, s46
	s_load_dwordx2 s[48:49], s[38:39], 0x0
	s_add_i32 s9, s9, s11
	s_mul_i32 s11, s0, s46
	s_sub_u32 s11, s30, s11
	s_subb_u32 s9, s31, s9
	s_load_dwordx2 s[30:31], s[36:37], 0x0
	s_waitcnt lgkmcnt(0)
	s_mul_i32 s25, s48, s9
	s_mul_hi_u32 s27, s48, s11
	s_add_i32 s25, s27, s25
	s_mul_i32 s27, s49, s11
	s_add_i32 s25, s25, s27
	v_mov_b32_e32 v7, s25
	s_mul_i32 s9, s30, s9
	s_mul_hi_u32 s25, s30, s11
	s_add_i32 s9, s25, s9
	s_mul_i32 s25, s31, s11
	s_add_i32 s9, s9, s25
	s_mul_i32 s27, s48, s11
	s_add_u32 s42, s42, 1
	v_add_co_u32_e32 v5, vcc, s27, v5
	s_addc_u32 s43, s43, 0
	v_addc_co_u32_e32 v3, vcc, v7, v3, vcc
	s_mul_i32 s11, s30, s11
	s_add_u32 s36, s36, 8
	v_mov_b32_e32 v7, s9
	v_add_co_u32_e32 v4, vcc, s11, v4
	s_addc_u32 s37, s37, 0
	v_addc_co_u32_e32 v6, vcc, v7, v6, vcc
	s_add_u32 s38, s38, 8
	s_addc_u32 s39, s39, 0
	v_cmp_ge_u64_e32 vcc, s[42:43], v[1:2]
	s_add_u32 s40, s40, 8
	s_mul_i32 s34, s46, s34
	s_addc_u32 s41, s41, 0
	s_mov_b64 s[30:31], s[0:1]
	s_cbranch_vccnz .LBB0_9
.LBB0_5:                                ; =>This Inner Loop Header: Depth=1
	s_load_dwordx2 s[46:47], s[40:41], 0x0
	s_waitcnt lgkmcnt(0)
	s_or_b64 s[0:1], s[30:31], s[46:47]
	s_mov_b32 s45, s1
	s_cmp_lg_u64 s[44:45], 0
	s_cbranch_scc0 .LBB0_7
; %bb.6:                                ;   in Loop: Header=BB0_5 Depth=1
	v_cvt_f32_u32_e32 v7, s46
	v_cvt_f32_u32_e32 v8, s47
	s_sub_u32 s0, 0, s46
	s_subb_u32 s1, 0, s47
	v_mac_f32_e32 v7, 0x4f800000, v8
	v_rcp_f32_e32 v7, v7
	v_mul_f32_e32 v7, 0x5f7ffffc, v7
	v_mul_f32_e32 v8, 0x2f800000, v7
	v_trunc_f32_e32 v8, v8
	v_mac_f32_e32 v7, 0xcf800000, v8
	v_cvt_u32_f32_e32 v8, v8
	v_cvt_u32_f32_e32 v7, v7
	v_readfirstlane_b32 s9, v8
	v_readfirstlane_b32 s11, v7
	s_mul_i32 s25, s0, s9
	s_mul_hi_u32 s33, s0, s11
	s_mul_i32 s27, s1, s11
	s_add_i32 s25, s33, s25
	s_mul_i32 s45, s0, s11
	s_add_i32 s25, s25, s27
	s_mul_hi_u32 s27, s11, s25
	s_mul_i32 s33, s11, s25
	s_mul_hi_u32 s11, s11, s45
	s_add_u32 s11, s11, s33
	s_addc_u32 s27, 0, s27
	s_mul_hi_u32 s48, s9, s45
	s_mul_i32 s45, s9, s45
	s_add_u32 s11, s11, s45
	s_mul_hi_u32 s33, s9, s25
	s_addc_u32 s11, s27, s48
	s_addc_u32 s27, s33, 0
	s_mul_i32 s25, s9, s25
	s_add_u32 s11, s11, s25
	s_addc_u32 s25, 0, s27
	v_add_co_u32_e32 v7, vcc, s11, v7
	s_cmp_lg_u64 vcc, 0
	s_addc_u32 s9, s9, s25
	v_readfirstlane_b32 s25, v7
	s_mul_i32 s11, s0, s9
	s_mul_hi_u32 s27, s0, s25
	s_add_i32 s11, s27, s11
	s_mul_i32 s1, s1, s25
	s_add_i32 s11, s11, s1
	s_mul_i32 s0, s0, s25
	s_mul_hi_u32 s27, s9, s0
	s_mul_i32 s33, s9, s0
	s_mul_i32 s48, s25, s11
	s_mul_hi_u32 s0, s25, s0
	s_mul_hi_u32 s45, s25, s11
	s_add_u32 s0, s0, s48
	s_addc_u32 s25, 0, s45
	s_add_u32 s0, s0, s33
	s_mul_hi_u32 s1, s9, s11
	s_addc_u32 s0, s25, s27
	s_addc_u32 s1, s1, 0
	s_mul_i32 s11, s9, s11
	s_add_u32 s0, s0, s11
	s_addc_u32 s1, 0, s1
	v_add_co_u32_e32 v7, vcc, s0, v7
	s_cmp_lg_u64 vcc, 0
	s_addc_u32 s0, s9, s1
	v_readfirstlane_b32 s11, v7
	s_mul_i32 s9, s30, s0
	s_mul_hi_u32 s25, s30, s11
	s_mul_hi_u32 s1, s30, s0
	s_add_u32 s9, s25, s9
	s_addc_u32 s1, 0, s1
	s_mul_hi_u32 s27, s31, s11
	s_mul_i32 s11, s31, s11
	s_add_u32 s9, s9, s11
	s_mul_hi_u32 s25, s31, s0
	s_addc_u32 s1, s1, s27
	s_addc_u32 s9, s25, 0
	s_mul_i32 s0, s31, s0
	s_add_u32 s11, s1, s0
	s_addc_u32 s9, 0, s9
	s_mul_i32 s0, s46, s9
	s_mul_hi_u32 s1, s46, s11
	s_add_i32 s0, s1, s0
	s_mul_i32 s1, s47, s11
	s_add_i32 s25, s0, s1
	s_mul_i32 s1, s46, s11
	v_mov_b32_e32 v7, s1
	s_sub_i32 s0, s31, s25
	v_sub_co_u32_e32 v7, vcc, s30, v7
	s_cmp_lg_u64 vcc, 0
	s_subb_u32 s27, s0, s47
	v_subrev_co_u32_e64 v8, s[0:1], s46, v7
	s_cmp_lg_u64 s[0:1], 0
	s_subb_u32 s0, s27, 0
	s_cmp_ge_u32 s0, s47
	v_readfirstlane_b32 s27, v8
	s_cselect_b32 s1, -1, 0
	s_cmp_ge_u32 s27, s46
	s_cselect_b32 s27, -1, 0
	s_cmp_eq_u32 s0, s47
	s_cselect_b32 s0, s27, s1
	s_add_u32 s1, s11, 1
	s_addc_u32 s27, s9, 0
	s_add_u32 s33, s11, 2
	s_addc_u32 s45, s9, 0
	s_cmp_lg_u32 s0, 0
	s_cselect_b32 s0, s33, s1
	s_cselect_b32 s1, s45, s27
	s_cmp_lg_u64 vcc, 0
	s_subb_u32 s25, s31, s25
	s_cmp_ge_u32 s25, s47
	v_readfirstlane_b32 s33, v7
	s_cselect_b32 s27, -1, 0
	s_cmp_ge_u32 s33, s46
	s_cselect_b32 s33, -1, 0
	s_cmp_eq_u32 s25, s47
	s_cselect_b32 s25, s33, s27
	s_cmp_lg_u32 s25, 0
	s_cselect_b32 s1, s1, s9
	s_cselect_b32 s0, s0, s11
	s_cbranch_execnz .LBB0_4
	s_branch .LBB0_8
.LBB0_7:                                ;   in Loop: Header=BB0_5 Depth=1
                                        ; implicit-def: $sgpr0_sgpr1
.LBB0_8:                                ;   in Loop: Header=BB0_5 Depth=1
	v_cvt_f32_u32_e32 v7, s46
	s_sub_i32 s0, 0, s46
	v_rcp_iflag_f32_e32 v7, v7
	v_mul_f32_e32 v7, 0x4f7ffffe, v7
	v_cvt_u32_f32_e32 v7, v7
	v_readfirstlane_b32 s1, v7
	s_mul_i32 s0, s0, s1
	s_mul_hi_u32 s0, s1, s0
	s_add_i32 s1, s1, s0
	s_mul_hi_u32 s0, s30, s1
	s_mul_i32 s9, s0, s46
	s_sub_i32 s9, s30, s9
	s_add_i32 s1, s0, 1
	s_sub_i32 s11, s9, s46
	s_cmp_ge_u32 s9, s46
	s_cselect_b32 s0, s1, s0
	s_cselect_b32 s9, s11, s9
	s_add_i32 s1, s0, 1
	s_cmp_ge_u32 s9, s46
	s_cselect_b32 s0, s1, s0
	s_mov_b32 s1, s44
	s_branch .LBB0_4
.LBB0_9:
	v_mov_b32_e32 v1, s34
	v_mov_b32_e32 v2, s35
	v_cmp_lt_u64_e32 vcc, s[6:7], v[1:2]
	s_mov_b64 s[30:31], 0
	s_cbranch_vccnz .LBB0_11
; %bb.10:
	v_cvt_f32_u32_e32 v1, s34
	s_sub_i32 s0, 0, s34
	v_rcp_iflag_f32_e32 v1, v1
	v_mul_f32_e32 v1, 0x4f7ffffe, v1
	v_cvt_u32_f32_e32 v1, v1
	v_readfirstlane_b32 s1, v1
	s_mul_i32 s0, s0, s1
	s_mul_hi_u32 s0, s1, s0
	s_add_i32 s1, s1, s0
	s_mul_hi_u32 s0, s6, s1
	s_mul_i32 s7, s0, s34
	s_sub_i32 s6, s6, s7
	s_add_i32 s1, s0, 1
	s_sub_i32 s7, s6, s34
	s_cmp_ge_u32 s6, s34
	s_cselect_b32 s0, s1, s0
	s_cselect_b32 s6, s7, s6
	s_add_i32 s1, s0, 1
	s_cmp_ge_u32 s6, s34
	s_cselect_b32 s30, s1, s0
.LBB0_11:
	s_lshl_b64 s[0:1], s[18:19], 3
	s_add_u32 s2, s2, s0
	s_addc_u32 s3, s3, s1
	s_load_dword s2, s[2:3], 0x0
	s_add_u32 s6, s22, s0
	s_addc_u32 s7, s23, s1
	s_add_u32 s0, s4, 16
	s_addc_u32 s1, s5, 0
	s_waitcnt lgkmcnt(0)
	s_mul_i32 s2, s2, s30
	v_add_u32_e32 v7, s2, v5
	v_mov_b32_e32 v5, s20
	v_mov_b32_e32 v6, s21
	v_and_b32_e32 v3, 15, v0
	v_cmp_le_u64_e32 vcc, s[0:1], v[5:6]
	s_movk_i32 s0, 0x7f
	v_or_b32_e32 v1, s4, v3
	v_mov_b32_e32 v2, s5
	v_cmp_lt_u32_e64 s[4:5], s0, v0
	s_movk_i32 s0, 0x80
	v_lshrrev_b32_e32 v5, 4, v0
	v_cmp_gt_u32_e64 s[2:3], s0, v0
	v_cmp_gt_u64_e64 s[0:1], s[20:21], v[1:2]
	v_mul_lo_u32 v8, s26, v3
	v_mul_lo_u32 v6, s24, v5
	v_cndmask_b32_e64 v9, 0, 1, s[2:3]
	v_cndmask_b32_e64 v2, 0, 1, s[0:1]
	s_or_b64 s[4:5], s[4:5], vcc
	v_cndmask_b32_e64 v2, v2, v9, s[4:5]
	v_and_b32_e32 v2, 1, v2
	v_add_lshl_u32 v6, v8, v6, 2
	v_cmp_eq_u32_e64 s[4:5], 1, v2
	v_lshlrev_b32_e32 v7, 2, v7
	v_cndmask_b32_e64 v2, -1, v6, s[4:5]
	v_add_u32_e32 v6, 8, v5
	v_mul_lo_u32 v6, s24, v6
	v_readfirstlane_b32 s9, v7
	v_or_b32_e32 v7, 16, v5
	v_mul_lo_u32 v7, s24, v7
	v_add_u32_e32 v9, 24, v5
	v_mul_lo_u32 v9, s24, v9
	v_add_lshl_u32 v6, v8, v6, 2
	v_cndmask_b32_e64 v17, -1, v6, s[4:5]
	v_add_lshl_u32 v6, v8, v7, 2
	v_cndmask_b32_e64 v7, -1, v6, s[4:5]
	v_add_lshl_u32 v6, v8, v9, 2
	v_or_b32_e32 v9, 32, v5
	v_mul_lo_u32 v9, s24, v9
	v_add_u32_e32 v10, 40, v5
	v_mul_lo_u32 v10, s24, v10
	v_cndmask_b32_e64 v18, -1, v6, s[4:5]
	v_add_lshl_u32 v6, v8, v9, 2
	v_cndmask_b32_e64 v9, -1, v6, s[4:5]
	v_add_lshl_u32 v6, v8, v10, 2
	v_or_b32_e32 v10, 48, v5
	v_mul_lo_u32 v10, s24, v10
	v_add_u32_e32 v11, 56, v5
	v_mul_lo_u32 v11, s24, v11
	v_cndmask_b32_e64 v19, -1, v6, s[4:5]
	v_add_lshl_u32 v6, v8, v10, 2
	v_cndmask_b32_e64 v20, -1, v6, s[4:5]
	v_add_lshl_u32 v6, v8, v11, 2
	s_mov_b32 s23, 0x20000
	s_mov_b32 s22, -2
	s_mov_b32 s20, s12
	s_mov_b32 s21, s13
	v_cndmask_b32_e64 v21, -1, v6, s[4:5]
	v_or_b32_e32 v6, 64, v5
	v_mul_lo_u32 v22, s24, v6
	buffer_load_dword v6, v2, s[20:23], s9 offen
	buffer_load_dword v10, v17, s[20:23], s9 offen
	;; [unrolled: 1-line block ×8, first 2 shown]
	v_add_u32_e32 v7, 0x48, v5
	v_or_b32_e32 v9, 0x50, v5
	v_add_u32_e32 v17, 0x58, v5
	v_or_b32_e32 v18, 0x60, v5
	v_mul_lo_u32 v7, s24, v7
	v_mul_lo_u32 v9, s24, v9
	;; [unrolled: 1-line block ×4, first 2 shown]
	v_add_lshl_u32 v2, v8, v22, 2
	v_cndmask_b32_e64 v2, -1, v2, s[4:5]
	v_add_lshl_u32 v7, v8, v7, 2
	v_add_lshl_u32 v9, v8, v9, 2
	;; [unrolled: 1-line block ×4, first 2 shown]
	v_cndmask_b32_e64 v7, -1, v7, s[4:5]
	v_cndmask_b32_e64 v9, -1, v9, s[4:5]
	v_cndmask_b32_e64 v22, -1, v17, s[4:5]
	v_cndmask_b32_e64 v8, -1, v8, s[4:5]
	buffer_load_dword v17, v2, s[20:23], s9 offen
	buffer_load_dword v18, v7, s[20:23], s9 offen
	;; [unrolled: 1-line block ×5, first 2 shown]
	s_load_dwordx2 s[4:5], s[6:7], 0x0
	v_lshlrev_b32_e32 v2, 2, v3
	s_and_saveexec_b64 s[6:7], s[2:3]
	s_cbranch_execz .LBB0_13
; %bb.12:
	s_waitcnt vmcnt(0)
	v_pk_add_f16 v7, v10, v21
	s_movk_i32 s2, 0x3b15
	v_mul_f16_sdwa v22, v7, s2 dst_sel:DWORD dst_unused:UNUSED_PAD src0_sel:WORD_1 src1_sel:DWORD
	v_pk_add_f16 v9, v10, v21 neg_lo:[0,1] neg_hi:[0,1]
	v_pk_add_f16 v8, v11, v20
	s_movk_i32 s3, 0x388b
	s_mov_b32 s9, 0xb770
	s_waitcnt lgkmcnt(0)
	s_mov_b32 s5, 0xba95
	v_fma_f16 v23, v9, s9, v22
	v_mul_f16_sdwa v24, v8, s3 dst_sel:DWORD dst_unused:UNUSED_PAD src0_sel:WORD_1 src1_sel:DWORD
	v_pk_add_f16 v25, v11, v20 neg_lo:[0,1] neg_hi:[0,1]
	v_add_f16_sdwa v23, v23, v6 dst_sel:DWORD dst_unused:UNUSED_PAD src0_sel:DWORD src1_sel:WORD_1
	v_fma_f16 v26, v25, s5, v24
	v_add_f16_e32 v23, v26, v23
	s_movk_i32 s11, 0x2fb7
	v_pk_add_f16 v26, v12, v19
	s_mov_b32 s13, 0xbbf1
	v_mul_f16_sdwa v27, v26, s11 dst_sel:DWORD dst_unused:UNUSED_PAD src0_sel:WORD_1 src1_sel:DWORD
	v_pk_add_f16 v28, v12, v19 neg_lo:[0,1] neg_hi:[0,1]
	v_fma_f16 v29, v28, s13, v27
	v_add_f16_e32 v23, v29, v23
	s_mov_b32 s12, 0xb5ac
	v_pk_add_f16 v29, v13, v18
	s_mov_b32 s20, 0xbb7b
	v_mul_f16_sdwa v30, v29, s12 dst_sel:DWORD dst_unused:UNUSED_PAD src0_sel:WORD_1 src1_sel:DWORD
	v_pk_add_f16 v31, v13, v18 neg_lo:[0,1] neg_hi:[0,1]
	v_fma_f16 v32, v31, s20, v30
	v_add_f16_e32 v23, v32, v23
	s_mov_b32 s18, 0xb9fd
	;; [unrolled: 7-line block ×3, first 2 shown]
	v_pk_add_f16 v35, v15, v16
	s_mov_b32 s25, 0xb3a8
	v_mul_f16_sdwa v36, v35, s19 dst_sel:DWORD dst_unused:UNUSED_PAD src0_sel:WORD_1 src1_sel:DWORD
	v_pk_add_f16 v37, v15, v16 neg_lo:[0,1] neg_hi:[0,1]
	v_fma_f16 v38, v37, s25, v36
	v_add_f16_e32 v23, v38, v23
	v_mul_f16_sdwa v38, v9, s9 dst_sel:DWORD dst_unused:UNUSED_PAD src0_sel:WORD_1 src1_sel:DWORD
	v_fma_f16 v39, v7, s2, -v38
	v_mul_f16_sdwa v40, v25, s5 dst_sel:DWORD dst_unused:UNUSED_PAD src0_sel:WORD_1 src1_sel:DWORD
	v_pk_add_f16 v10, v6, v10
	v_add_f16_e32 v39, v39, v6
	v_fma_f16 v41, v8, s3, -v40
	v_pk_add_f16 v10, v10, v11
	v_add_f16_e32 v39, v41, v39
	v_mul_f16_sdwa v41, v28, s13 dst_sel:DWORD dst_unused:UNUSED_PAD src0_sel:WORD_1 src1_sel:DWORD
	v_pk_add_f16 v10, v10, v12
	v_fma_f16 v42, v26, s11, -v41
	v_pk_add_f16 v10, v10, v13
	v_add_f16_e32 v39, v42, v39
	v_mul_f16_sdwa v42, v31, s20 dst_sel:DWORD dst_unused:UNUSED_PAD src0_sel:WORD_1 src1_sel:DWORD
	v_pk_add_f16 v10, v10, v14
	;; [unrolled: 5-line block ×4, first 2 shown]
	v_fma_f16 v45, v35, s19, -v44
	v_pk_add_f16 v10, v10, v19
	v_add_f16_e32 v39, v45, v39
	v_pk_add_f16 v10, v10, v20
	v_mul_u32_u24_e32 v12, 0x340, v5
	v_pk_add_f16 v10, v10, v21
	v_pack_b32_f16 v11, v39, v23
	v_add3_u32 v12, 0, v12, v2
	ds_write2_b32 v12, v10, v11 offset1:16
	v_mul_f16_sdwa v10, v7, s11 dst_sel:DWORD dst_unused:UNUSED_PAD src0_sel:WORD_1 src1_sel:DWORD
	v_fma_f16 v11, v9, s13, v10
	v_mul_f16_sdwa v13, v8, s19 dst_sel:DWORD dst_unused:UNUSED_PAD src0_sel:WORD_1 src1_sel:DWORD
	v_add_f16_sdwa v11, v11, v6 dst_sel:DWORD dst_unused:UNUSED_PAD src0_sel:DWORD src1_sel:WORD_1
	v_fma_f16 v14, v25, s25, v13
	v_add_f16_e32 v11, v14, v11
	s_movk_i32 s34, 0x3b7b
	v_mul_f16_sdwa v14, v26, s12 dst_sel:DWORD dst_unused:UNUSED_PAD src0_sel:WORD_1 src1_sel:DWORD
	v_fma_f16 v15, v28, s34, v14
	v_add_f16_e32 v11, v15, v11
	s_movk_i32 s24, 0x3770
	v_mul_f16_sdwa v15, v29, s2 dst_sel:DWORD dst_unused:UNUSED_PAD src0_sel:WORD_1 src1_sel:DWORD
	v_fma_f16 v16, v31, s24, v15
	v_add_f16_e32 v11, v16, v11
	v_mul_f16_sdwa v16, v32, s3 dst_sel:DWORD dst_unused:UNUSED_PAD src0_sel:WORD_1 src1_sel:DWORD
	v_fma_f16 v17, v34, s5, v16
	v_add_f16_e32 v11, v17, v11
	;; [unrolled: 3-line block ×3, first 2 shown]
	v_mul_f16_sdwa v18, v9, s13 dst_sel:DWORD dst_unused:UNUSED_PAD src0_sel:WORD_1 src1_sel:DWORD
	v_fma_f16 v19, v7, s11, -v18
	v_mul_f16_sdwa v20, v25, s25 dst_sel:DWORD dst_unused:UNUSED_PAD src0_sel:WORD_1 src1_sel:DWORD
	v_add_f16_e32 v19, v19, v6
	v_fma_f16 v21, v8, s19, -v20
	v_add_f16_e32 v19, v21, v19
	v_mul_f16_sdwa v21, v28, s34 dst_sel:DWORD dst_unused:UNUSED_PAD src0_sel:WORD_1 src1_sel:DWORD
	v_fma_f16 v23, v26, s12, -v21
	v_add_f16_e32 v19, v23, v19
	v_mul_f16_sdwa v23, v31, s24 dst_sel:DWORD dst_unused:UNUSED_PAD src0_sel:WORD_1 src1_sel:DWORD
	v_fma_f16 v39, v29, s2, -v23
	v_add_f16_e32 v19, v39, v19
	v_mul_f16_sdwa v39, v34, s5 dst_sel:DWORD dst_unused:UNUSED_PAD src0_sel:WORD_1 src1_sel:DWORD
	v_fma_f16 v45, v32, s3, -v39
	v_add_f16_e32 v19, v45, v19
	v_mul_f16_sdwa v45, v37, s21 dst_sel:DWORD dst_unused:UNUSED_PAD src0_sel:WORD_1 src1_sel:DWORD
	v_fma_f16 v46, v35, s18, -v45
	v_add_f16_e32 v19, v46, v19
	v_mul_f16_sdwa v46, v7, s3 dst_sel:DWORD dst_unused:UNUSED_PAD src0_sel:WORD_1 src1_sel:DWORD
	v_fma_f16 v47, v9, s5, v46
	v_mul_f16_sdwa v48, v8, s12 dst_sel:DWORD dst_unused:UNUSED_PAD src0_sel:WORD_1 src1_sel:DWORD
	v_add_f16_sdwa v47, v47, v6 dst_sel:DWORD dst_unused:UNUSED_PAD src0_sel:DWORD src1_sel:WORD_1
	v_fma_f16 v49, v25, s20, v48
	v_add_f16_e32 v47, v49, v47
	v_mul_f16_sdwa v49, v26, s19 dst_sel:DWORD dst_unused:UNUSED_PAD src0_sel:WORD_1 src1_sel:DWORD
	v_fma_f16 v50, v28, s25, v49
	v_add_f16_e32 v47, v50, v47
	s_movk_i32 s26, 0x394e
	v_mul_f16_sdwa v50, v29, s18 dst_sel:DWORD dst_unused:UNUSED_PAD src0_sel:WORD_1 src1_sel:DWORD
	v_fma_f16 v51, v31, s26, v50
	v_add_f16_e32 v47, v51, v47
	s_movk_i32 s31, 0x3bf1
	v_mul_f16_sdwa v51, v32, s11 dst_sel:DWORD dst_unused:UNUSED_PAD src0_sel:WORD_1 src1_sel:DWORD
	v_fma_f16 v52, v34, s31, v51
	v_add_f16_e32 v47, v52, v47
	v_mul_f16_sdwa v52, v35, s2 dst_sel:DWORD dst_unused:UNUSED_PAD src0_sel:WORD_1 src1_sel:DWORD
	v_fma_f16 v53, v37, s24, v52
	v_add_f16_e32 v47, v53, v47
	v_mul_f16_sdwa v53, v9, s5 dst_sel:DWORD dst_unused:UNUSED_PAD src0_sel:WORD_1 src1_sel:DWORD
	v_fma_f16 v54, v7, s3, -v53
	v_mul_f16_sdwa v55, v25, s20 dst_sel:DWORD dst_unused:UNUSED_PAD src0_sel:WORD_1 src1_sel:DWORD
	v_add_f16_e32 v54, v54, v6
	v_fma_f16 v56, v8, s12, -v55
	v_add_f16_e32 v54, v56, v54
	v_mul_f16_sdwa v56, v28, s25 dst_sel:DWORD dst_unused:UNUSED_PAD src0_sel:WORD_1 src1_sel:DWORD
	v_fma_f16 v57, v26, s19, -v56
	v_add_f16_e32 v54, v57, v54
	v_mul_f16_sdwa v57, v31, s26 dst_sel:DWORD dst_unused:UNUSED_PAD src0_sel:WORD_1 src1_sel:DWORD
	;; [unrolled: 3-line block ×4, first 2 shown]
	v_fma_f16 v60, v35, s2, -v59
	v_add_f16_e32 v54, v60, v54
	v_pack_b32_f16 v47, v54, v47
	v_pack_b32_f16 v11, v19, v11
	ds_write2_b32 v12, v47, v11 offset0:32 offset1:48
	v_fma_f16 v11, v9, s24, v22
	s_movk_i32 s27, 0x3a95
	s_movk_i32 s33, 0x33a8
	v_fma_f16 v10, v9, s31, v10
	v_add_f16_sdwa v11, v11, v6 dst_sel:DWORD dst_unused:UNUSED_PAD src0_sel:DWORD src1_sel:WORD_1
	v_fma_f16 v19, v25, s27, v24
	v_add_f16_sdwa v10, v10, v6 dst_sel:DWORD dst_unused:UNUSED_PAD src0_sel:DWORD src1_sel:WORD_1
	v_fma_f16 v13, v25, s33, v13
	v_add_f16_e32 v11, v19, v11
	v_fma_f16 v19, v28, s31, v27
	v_add_f16_e32 v10, v13, v10
	v_fma_f16 v13, v28, s20, v14
	v_add_f16_e32 v11, v19, v11
	v_fma_f16 v19, v31, s34, v30
	v_add_f16_e32 v10, v13, v10
	v_fma_f16 v13, v31, s9, v15
	v_add_f16_e32 v11, v19, v11
	v_fma_f16 v19, v34, s26, v33
	v_add_f16_e32 v10, v13, v10
	v_fma_f16 v13, v34, s27, v16
	v_add_f16_e32 v11, v19, v11
	v_fma_f16 v19, v37, s33, v36
	v_add_f16_e32 v10, v13, v10
	v_fma_f16 v13, v37, s26, v17
	v_add_f16_e32 v11, v19, v11
	v_fma_f16 v19, v7, s2, v38
	v_add_f16_e32 v10, v13, v10
	v_fma_f16 v13, v7, s11, v18
	v_add_f16_e32 v19, v19, v6
	v_fma_f16 v22, v8, s3, v40
	v_add_f16_e32 v13, v13, v6
	v_fma_f16 v14, v8, s19, v20
	v_add_f16_e32 v19, v22, v19
	v_fma_f16 v22, v26, s11, v41
	v_add_f16_e32 v13, v14, v13
	v_fma_f16 v14, v26, s12, v21
	v_add_f16_e32 v19, v22, v19
	v_fma_f16 v22, v29, s12, v42
	v_add_f16_e32 v13, v14, v13
	v_fma_f16 v14, v29, s2, v23
	v_add_f16_e32 v19, v22, v19
	v_fma_f16 v22, v32, s18, v43
	v_add_f16_e32 v13, v14, v13
	v_fma_f16 v14, v32, s3, v39
	v_add_f16_e32 v19, v22, v19
	v_fma_f16 v22, v35, s19, v44
	v_add_f16_e32 v13, v14, v13
	v_fma_f16 v14, v35, s18, v45
	v_add_f16_e32 v19, v22, v19
	v_fma_f16 v22, v9, s27, v46
	v_add_f16_e32 v13, v14, v13
	v_mul_f16_sdwa v14, v7, s12 dst_sel:DWORD dst_unused:UNUSED_PAD src0_sel:WORD_1 src1_sel:DWORD
	v_add_f16_sdwa v22, v22, v6 dst_sel:DWORD dst_unused:UNUSED_PAD src0_sel:DWORD src1_sel:WORD_1
	v_fma_f16 v24, v25, s34, v48
	v_fma_f16 v15, v9, s34, v14
	v_mul_f16_sdwa v16, v8, s18 dst_sel:DWORD dst_unused:UNUSED_PAD src0_sel:WORD_1 src1_sel:DWORD
	v_add_f16_e32 v22, v24, v22
	v_fma_f16 v24, v28, s33, v49
	v_add_f16_sdwa v15, v15, v6 dst_sel:DWORD dst_unused:UNUSED_PAD src0_sel:DWORD src1_sel:WORD_1
	v_fma_f16 v17, v25, s21, v16
	v_add_f16_e32 v22, v24, v22
	v_fma_f16 v24, v31, s21, v50
	v_add_f16_e32 v15, v17, v15
	v_mul_f16_sdwa v17, v26, s2 dst_sel:DWORD dst_unused:UNUSED_PAD src0_sel:WORD_1 src1_sel:DWORD
	v_add_f16_e32 v22, v24, v22
	v_fma_f16 v24, v34, s13, v51
	v_fma_f16 v18, v28, s9, v17
	v_add_f16_e32 v22, v24, v22
	v_fma_f16 v24, v37, s9, v52
	v_add_f16_e32 v15, v18, v15
	v_mul_f16_sdwa v18, v29, s11 dst_sel:DWORD dst_unused:UNUSED_PAD src0_sel:WORD_1 src1_sel:DWORD
	v_add_f16_e32 v22, v24, v22
	v_fma_f16 v24, v7, s3, v53
	v_fma_f16 v20, v31, s31, v18
	v_add_f16_e32 v24, v24, v6
	v_fma_f16 v27, v8, s12, v55
	v_add_f16_e32 v15, v20, v15
	v_mul_f16_sdwa v20, v32, s19 dst_sel:DWORD dst_unused:UNUSED_PAD src0_sel:WORD_1 src1_sel:DWORD
	v_add_f16_e32 v24, v27, v24
	v_fma_f16 v27, v26, s19, v56
	v_fma_f16 v21, v34, s25, v20
	v_add_f16_e32 v24, v27, v24
	v_fma_f16 v27, v29, s18, v57
	v_add_f16_e32 v15, v21, v15
	v_mul_f16_sdwa v21, v35, s3 dst_sel:DWORD dst_unused:UNUSED_PAD src0_sel:WORD_1 src1_sel:DWORD
	v_add_f16_e32 v24, v27, v24
	v_fma_f16 v27, v32, s11, v58
	v_fma_f16 v23, v37, s5, v21
	v_add_f16_e32 v24, v27, v24
	v_fma_f16 v27, v35, s2, v59
	v_add_f16_e32 v15, v23, v15
	v_mul_f16_sdwa v23, v9, s20 dst_sel:DWORD dst_unused:UNUSED_PAD src0_sel:WORD_1 src1_sel:DWORD
	v_add_f16_e32 v24, v27, v24
	v_fma_f16 v27, v7, s12, v23
	v_mul_f16_sdwa v30, v25, s26 dst_sel:DWORD dst_unused:UNUSED_PAD src0_sel:WORD_1 src1_sel:DWORD
	v_add_f16_e32 v27, v27, v6
	v_fma_f16 v33, v8, s18, v30
	v_add_f16_e32 v27, v33, v27
	v_mul_f16_sdwa v33, v28, s24 dst_sel:DWORD dst_unused:UNUSED_PAD src0_sel:WORD_1 src1_sel:DWORD
	v_fma_f16 v36, v26, s2, v33
	v_add_f16_e32 v27, v36, v27
	v_mul_f16_sdwa v36, v31, s13 dst_sel:DWORD dst_unused:UNUSED_PAD src0_sel:WORD_1 src1_sel:DWORD
	;; [unrolled: 3-line block ×5, first 2 shown]
	v_fma_f16 v41, v9, s26, v40
	v_mul_f16_sdwa v42, v8, s11 dst_sel:DWORD dst_unused:UNUSED_PAD src0_sel:WORD_1 src1_sel:DWORD
	v_add_f16_sdwa v41, v41, v6 dst_sel:DWORD dst_unused:UNUSED_PAD src0_sel:DWORD src1_sel:WORD_1
	v_fma_f16 v43, v25, s13, v42
	v_add_f16_e32 v41, v43, v41
	v_mul_f16_sdwa v43, v26, s3 dst_sel:DWORD dst_unused:UNUSED_PAD src0_sel:WORD_1 src1_sel:DWORD
	v_fma_f16 v44, v28, s27, v43
	v_add_f16_e32 v41, v44, v41
	v_mul_f16_sdwa v44, v29, s19 dst_sel:DWORD dst_unused:UNUSED_PAD src0_sel:WORD_1 src1_sel:DWORD
	;; [unrolled: 3-line block ×5, first 2 shown]
	v_fma_f16 v48, v7, s18, v47
	v_mul_f16_sdwa v49, v25, s31 dst_sel:DWORD dst_unused:UNUSED_PAD src0_sel:WORD_1 src1_sel:DWORD
	v_add_f16_e32 v48, v48, v6
	v_fma_f16 v50, v8, s11, v49
	v_add_f16_e32 v48, v50, v48
	v_mul_f16_sdwa v50, v28, s5 dst_sel:DWORD dst_unused:UNUSED_PAD src0_sel:WORD_1 src1_sel:DWORD
	v_fma_f16 v51, v26, s3, v50
	v_add_f16_e32 v48, v51, v48
	v_mul_f16_sdwa v51, v31, s33 dst_sel:DWORD dst_unused:UNUSED_PAD src0_sel:WORD_1 src1_sel:DWORD
	;; [unrolled: 3-line block ×4, first 2 shown]
	v_fma_f16 v54, v35, s12, v53
	v_add_f16_e32 v48, v54, v48
	v_pk_mul_f16 v54, v9, s25 op_sel_hi:[1,0]
	v_pk_fma_f16 v55, v7, s19, v54 op_sel:[0,0,1] op_sel_hi:[1,0,0]
	v_pk_fma_f16 v54, v7, s19, v54 op_sel:[0,0,1] op_sel_hi:[1,0,0] neg_lo:[0,0,1] neg_hi:[0,0,1]
	s_mov_b32 s9, 0xffff
	v_pk_mul_f16 v57, v25, s24 op_sel_hi:[1,0]
	v_bfi_b32 v56, s9, v55, v54
	v_pk_fma_f16 v58, v8, s2, v57 op_sel:[0,0,1] op_sel_hi:[1,0,0]
	v_pk_fma_f16 v57, v8, s2, v57 op_sel:[0,0,1] op_sel_hi:[1,0,0] neg_lo:[0,0,1] neg_hi:[0,0,1]
	v_fma_f16 v40, v9, s21, v40
	v_pk_add_f16 v56, v56, v6
	v_bfi_b32 v59, s9, v58, v57
	v_add_f16_sdwa v40, v40, v6 dst_sel:DWORD dst_unused:UNUSED_PAD src0_sel:DWORD src1_sel:WORD_1
	v_fma_f16 v42, v25, s31, v42
	v_pk_add_f16 v56, v59, v56
	v_pk_mul_f16 v59, v28, s21 op_sel_hi:[1,0]
	v_add_f16_e32 v40, v42, v40
	v_fma_f16 v42, v28, s5, v43
	v_pk_fma_f16 v60, v26, s18, v59 op_sel:[0,0,1] op_sel_hi:[1,0,0]
	v_pk_fma_f16 v59, v26, s18, v59 op_sel:[0,0,1] op_sel_hi:[1,0,0] neg_lo:[0,0,1] neg_hi:[0,0,1]
	v_add_f16_e32 v40, v42, v40
	v_fma_f16 v42, v31, s33, v44
	v_bfi_b32 v61, s9, v60, v59
	v_add_f16_e32 v40, v42, v40
	v_fma_f16 v42, v34, s24, v45
	v_pk_add_f16 v56, v61, v56
	v_pk_mul_f16 v61, v31, s27 op_sel_hi:[1,0]
	v_add_f16_e32 v40, v42, v40
	v_fma_f16 v42, v37, s20, v46
	v_pk_fma_f16 v62, v29, s3, v61 op_sel:[0,0,1] op_sel_hi:[1,0,0]
	v_pk_fma_f16 v61, v29, s3, v61 op_sel:[0,0,1] op_sel_hi:[1,0,0] neg_lo:[0,0,1] neg_hi:[0,0,1]
	v_add_f16_e32 v40, v42, v40
	v_fma_f16 v42, v7, s18, -v47
	v_fma_f16 v9, v9, s20, v14
	v_fma_f16 v7, v7, s12, -v23
	v_bfi_b32 v63, s9, v62, v61
	v_pk_add_f16 v55, v55, v6
	v_pk_add_f16 v54, v54, v6
	v_add_f16_e32 v42, v42, v6
	v_fma_f16 v43, v8, s11, -v49
	v_fma_f16 v14, v25, s26, v16
	v_add_f16_sdwa v9, v9, v6 dst_sel:DWORD dst_unused:UNUSED_PAD src0_sel:DWORD src1_sel:WORD_1
	v_add_f16_e32 v6, v7, v6
	v_fma_f16 v7, v8, s18, -v30
	v_pk_add_f16 v56, v63, v56
	v_pk_mul_f16 v63, v34, s20 op_sel_hi:[1,0]
	v_add_f16_e32 v42, v43, v42
	v_fma_f16 v43, v26, s3, -v50
	v_add_f16_e32 v9, v14, v9
	v_fma_f16 v14, v28, s24, v17
	v_add_f16_e32 v6, v7, v6
	v_fma_f16 v7, v26, s2, -v33
	v_pk_fma_f16 v64, v32, s12, v63 op_sel:[0,0,1] op_sel_hi:[1,0,0]
	v_pk_fma_f16 v63, v32, s12, v63 op_sel:[0,0,1] op_sel_hi:[1,0,0] neg_lo:[0,0,1] neg_hi:[0,0,1]
	v_pk_add_f16 v55, v58, v55
	v_pk_add_f16 v54, v57, v54
	v_add_f16_e32 v42, v43, v42
	v_fma_f16 v43, v29, s19, -v51
	v_add_f16_e32 v9, v14, v9
	v_fma_f16 v14, v31, s13, v18
	v_add_f16_e32 v6, v7, v6
	v_fma_f16 v7, v29, s11, -v36
	v_bfi_b32 v65, s9, v64, v63
	v_pk_add_f16 v55, v60, v55
	v_pk_add_f16 v54, v59, v54
	v_add_f16_e32 v42, v43, v42
	v_fma_f16 v43, v32, s2, -v52
	v_add_f16_e32 v9, v14, v9
	v_fma_f16 v14, v34, s33, v20
	v_add_f16_e32 v6, v7, v6
	v_fma_f16 v7, v32, s19, -v38
	v_pk_add_f16 v56, v65, v56
	v_pk_mul_f16 v65, v37, s31 op_sel_hi:[1,0]
	v_pk_add_f16 v55, v62, v55
	v_pk_add_f16 v54, v61, v54
	v_add_f16_e32 v42, v43, v42
	v_fma_f16 v43, v35, s12, -v53
	v_add_f16_e32 v9, v14, v9
	v_fma_f16 v14, v37, s27, v21
	v_add_f16_e32 v6, v7, v6
	v_fma_f16 v7, v35, s3, -v39
	v_pk_fma_f16 v66, v35, s11, v65 op_sel:[0,0,1] op_sel_hi:[1,0,0]
	v_pk_fma_f16 v65, v35, s11, v65 op_sel:[0,0,1] op_sel_hi:[1,0,0] neg_lo:[0,0,1] neg_hi:[0,0,1]
	v_pk_add_f16 v55, v64, v55
	v_pk_add_f16 v54, v63, v54
	v_add_f16_e32 v42, v43, v42
	v_add_f16_e32 v9, v14, v9
	;; [unrolled: 1-line block ×3, first 2 shown]
	v_bfi_b32 v67, s9, v66, v65
	v_pk_add_f16 v55, v66, v55
	v_pk_add_f16 v54, v65, v54
	v_pack_b32_f16 v6, v6, v9
	v_pack_b32_f16 v7, v42, v40
	v_pk_add_f16 v56, v67, v56
	ds_write2_b32 v12, v6, v7 offset0:64 offset1:80
	v_bfi_b32 v6, s9, v54, v55
	ds_write2_b32 v12, v6, v56 offset0:96 offset1:112
	v_pack_b32_f16 v6, v48, v41
	v_pack_b32_f16 v7, v27, v15
	ds_write2_b32 v12, v6, v7 offset0:128 offset1:144
	v_pack_b32_f16 v6, v13, v10
	v_pack_b32_f16 v7, v24, v22
	ds_write2_b32 v12, v6, v7 offset0:160 offset1:176
	v_pack_b32_f16 v6, v19, v11
	ds_write_b32 v12, v6 offset:768
.LBB0_13:
	s_or_b64 exec, exec, s[6:7]
	s_waitcnt vmcnt(12)
	v_mul_lo_u16_e32 v6, 20, v5
	v_mov_b32_e32 v7, 13
	v_mul_lo_u16_sdwa v6, v6, v7 dst_sel:DWORD dst_unused:UNUSED_PAD src0_sel:BYTE_1 src1_sel:DWORD
	v_sub_u16_e32 v6, v5, v6
	s_waitcnt vmcnt(2)
	v_and_b32_e32 v19, 0xff, v6
	v_mul_u32_u24_e32 v6, 7, v19
	v_lshlrev_b32_e32 v13, 2, v6
	s_waitcnt vmcnt(0) lgkmcnt(0)
	s_barrier
	global_load_dwordx4 v[6:9], v13, s[28:29]
	global_load_dwordx3 v[10:12], v13, s[28:29] offset:16
	v_lshlrev_b32_e32 v5, 6, v5
	s_mul_i32 s2, s4, s30
	v_add3_u32 v2, 0, v5, v2
	v_add_u32_e32 v21, s2, v4
	ds_read2_b32 v[4:5], v2 offset1:208
	v_add_u32_e32 v13, 0x600, v2
	v_add_u32_e32 v17, 0xd00, v2
	ds_read_u16 v22, v2 offset:4994
	v_add_u32_e32 v2, 0x1300, v2
	ds_read2_b32 v[13:14], v13 offset0:32 offset1:240
	ds_read2_b32 v[15:16], v2 offset0:32 offset1:240
	ds_read2_b32 v[17:18], v17 offset1:208
	v_mul_lo_u32 v2, v1, v19
	v_mov_b32_e32 v20, 2
	s_waitcnt lgkmcnt(4)
	v_lshrrev_b32_e32 v23, 16, v5
	s_waitcnt lgkmcnt(1)
	v_lshrrev_b32_e32 v25, 16, v16
	v_lshlrev_b32_sdwa v30, v20, v2 dst_sel:DWORD dst_unused:UNUSED_PAD src0_sel:DWORD src1_sel:BYTE_0
	v_lshlrev_b32_sdwa v31, v20, v2 dst_sel:DWORD dst_unused:UNUSED_PAD src0_sel:DWORD src1_sel:BYTE_1
	v_lshlrev_b32_sdwa v2, v20, v2 dst_sel:DWORD dst_unused:UNUSED_PAD src0_sel:DWORD src1_sel:BYTE_2
	v_lshrrev_b32_e32 v26, 16, v13
	v_lshrrev_b32_e32 v27, 16, v14
	s_waitcnt lgkmcnt(0)
	v_lshrrev_b32_e32 v28, 16, v17
	v_lshrrev_b32_e32 v29, 16, v18
	;; [unrolled: 1-line block ×3, first 2 shown]
	s_mov_b32 s2, 0xb9a8
	s_movk_i32 s3, 0x39a8
	v_mul_u32_u24_e32 v0, 0x13c, v0
	v_mul_lo_u32 v3, s10, v3
	s_or_b64 vcc, vcc, s[0:1]
	s_mov_b32 s20, s14
	s_mov_b32 s21, s15
	s_waitcnt vmcnt(1)
	v_mul_f16_sdwa v32, v6, v23 dst_sel:DWORD dst_unused:UNUSED_PAD src0_sel:WORD_1 src1_sel:DWORD
	v_mul_f16_sdwa v33, v6, v5 dst_sel:DWORD dst_unused:UNUSED_PAD src0_sel:WORD_1 src1_sel:DWORD
	s_waitcnt vmcnt(0)
	v_mul_f16_sdwa v42, v22, v11 dst_sel:DWORD dst_unused:UNUSED_PAD src0_sel:DWORD src1_sel:WORD_1
	v_mul_f16_sdwa v43, v11, v15 dst_sel:DWORD dst_unused:UNUSED_PAD src0_sel:WORD_1 src1_sel:DWORD
	v_fma_f16 v5, v6, v5, -v32
	v_fma_f16 v6, v6, v23, v33
	v_fma_f16 v15, v11, v15, -v42
	v_fma_f16 v11, v22, v11, v43
	global_load_dword v22, v30, s[16:17]
	global_load_dword v23, v31, s[16:17] offset:1024
	v_mul_f16_sdwa v44, v25, v12 dst_sel:DWORD dst_unused:UNUSED_PAD src0_sel:DWORD src1_sel:WORD_1
	global_load_dword v2, v2, s[16:17] offset:2048
	v_mul_f16_sdwa v45, v16, v12 dst_sel:DWORD dst_unused:UNUSED_PAD src0_sel:DWORD src1_sel:WORD_1
	v_fma_f16 v16, v16, v12, -v44
	v_fma_f16 v12, v25, v12, v45
	v_add_u32_e32 v25, 13, v19
	v_mul_f16_sdwa v34, v7, v26 dst_sel:DWORD dst_unused:UNUSED_PAD src0_sel:WORD_1 src1_sel:DWORD
	v_mul_f16_sdwa v35, v7, v13 dst_sel:DWORD dst_unused:UNUSED_PAD src0_sel:WORD_1 src1_sel:DWORD
	;; [unrolled: 1-line block ×6, first 2 shown]
	v_mul_lo_u32 v25, v1, v25
	v_mul_f16_sdwa v39, v9, v17 dst_sel:DWORD dst_unused:UNUSED_PAD src0_sel:WORD_1 src1_sel:DWORD
	v_mul_f16_sdwa v41, v10, v18 dst_sel:DWORD dst_unused:UNUSED_PAD src0_sel:WORD_1 src1_sel:DWORD
	v_fma_f16 v13, v7, v13, -v34
	v_fma_f16 v7, v7, v26, v35
	v_fma_f16 v14, v8, v14, -v36
	v_fma_f16 v8, v8, v27, v37
	v_fma_f16 v17, v9, v17, -v38
	v_fma_f16 v18, v10, v18, -v40
	v_fma_f16 v9, v9, v28, v39
	v_fma_f16 v10, v10, v29, v41
	v_sub_f16_e32 v17, v4, v17
	v_sub_f16_e32 v11, v7, v11
	;; [unrolled: 1-line block ×8, first 2 shown]
	v_fma_f16 v7, v7, 2.0, -v11
	v_fma_f16 v8, v8, 2.0, -v12
	v_sub_f16_e32 v11, v17, v11
	v_sub_f16_e32 v12, v18, v12
	v_fma_f16 v4, v4, 2.0, -v17
	v_fma_f16 v13, v13, 2.0, -v15
	;; [unrolled: 1-line block ×4, first 2 shown]
	v_add_f16_e32 v15, v9, v15
	v_fma_f16 v17, v17, 2.0, -v11
	v_add_f16_e32 v16, v10, v16
	v_fma_f16 v18, v18, 2.0, -v12
	v_lshlrev_b32_sdwa v26, v20, v25 dst_sel:DWORD dst_unused:UNUSED_PAD src0_sel:DWORD src1_sel:BYTE_0
	v_fma_f16 v24, v24, 2.0, -v9
	v_fma_f16 v6, v6, 2.0, -v10
	;; [unrolled: 1-line block ×4, first 2 shown]
	v_lshlrev_b32_sdwa v27, v20, v25 dst_sel:DWORD dst_unused:UNUSED_PAD src0_sel:DWORD src1_sel:BYTE_1
	global_load_dword v28, v26, s[16:17]
	global_load_dword v29, v27, s[16:17] offset:1024
	v_fma_f16 v26, v18, s2, v17
	v_fma_f16 v27, v10, s2, v9
	;; [unrolled: 1-line block ×3, first 2 shown]
	v_add_u32_e32 v26, 26, v19
	v_lshlrev_b32_sdwa v25, v20, v25 dst_sel:DWORD dst_unused:UNUSED_PAD src0_sel:DWORD src1_sel:BYTE_2
	v_mul_lo_u32 v26, v1, v26
	global_load_dword v25, v25, s[16:17] offset:2048
	v_fma_f16 v18, v18, s3, v27
	v_add_u32_e32 v39, 0x41, v19
	v_lshlrev_b32_sdwa v27, v20, v26 dst_sel:DWORD dst_unused:UNUSED_PAD src0_sel:DWORD src1_sel:BYTE_0
	v_lshlrev_b32_sdwa v30, v20, v26 dst_sel:DWORD dst_unused:UNUSED_PAD src0_sel:DWORD src1_sel:BYTE_1
	global_load_dword v31, v27, s[16:17]
	global_load_dword v32, v30, s[16:17] offset:1024
	v_lshlrev_b32_sdwa v26, v20, v26 dst_sel:DWORD dst_unused:UNUSED_PAD src0_sel:DWORD src1_sel:BYTE_2
	v_add_u32_e32 v27, 39, v19
	global_load_dword v26, v26, s[16:17] offset:2048
	v_mul_lo_u32 v27, v1, v27
	v_fma_f16 v30, v12, s3, v11
	v_mul_lo_u32 v39, v1, v39
	v_add_u32_e32 v41, 0x4e, v19
	v_lshlrev_b32_sdwa v33, v20, v27 dst_sel:DWORD dst_unused:UNUSED_PAD src0_sel:DWORD src1_sel:BYTE_0
	v_lshlrev_b32_sdwa v34, v20, v27 dst_sel:DWORD dst_unused:UNUSED_PAD src0_sel:DWORD src1_sel:BYTE_1
	global_load_dword v35, v33, s[16:17]
	global_load_dword v36, v34, s[16:17] offset:1024
	v_fma_f16 v33, v16, s3, v15
	v_fma_f16 v16, v16, s2, v30
	v_lshlrev_b32_sdwa v27, v20, v27 dst_sel:DWORD dst_unused:UNUSED_PAD src0_sel:DWORD src1_sel:BYTE_2
	v_add_u32_e32 v30, 52, v19
	global_load_dword v27, v27, s[16:17] offset:2048
	v_mul_lo_u32 v30, v1, v30
	v_fma_f16 v12, v12, s3, v33
	v_mul_lo_u32 v41, v1, v41
	v_sub_f16_e32 v7, v24, v7
	v_lshlrev_b32_sdwa v33, v20, v30 dst_sel:DWORD dst_unused:UNUSED_PAD src0_sel:DWORD src1_sel:BYTE_0
	v_lshlrev_b32_sdwa v34, v20, v30 dst_sel:DWORD dst_unused:UNUSED_PAD src0_sel:DWORD src1_sel:BYTE_1
	global_load_dword v37, v33, s[16:17]
	global_load_dword v38, v34, s[16:17] offset:1024
	v_lshlrev_b32_sdwa v30, v20, v30 dst_sel:DWORD dst_unused:UNUSED_PAD src0_sel:DWORD src1_sel:BYTE_2
	global_load_dword v30, v30, s[16:17] offset:2048
	s_waitcnt vmcnt(14)
	v_lshrrev_b32_e32 v33, 16, v22
	s_waitcnt vmcnt(13)
	v_mul_f16_sdwa v34, v33, v23 dst_sel:DWORD dst_unused:UNUSED_PAD src0_sel:DWORD src1_sel:WORD_1
	v_fma_f16 v34, v22, v23, -v34
	v_mul_f16_sdwa v22, v22, v23 dst_sel:DWORD dst_unused:UNUSED_PAD src0_sel:DWORD src1_sel:WORD_1
	v_fma_f16 v22, v33, v23, v22
	v_lshlrev_b32_sdwa v23, v20, v39 dst_sel:DWORD dst_unused:UNUSED_PAD src0_sel:DWORD src1_sel:BYTE_0
	v_lshlrev_b32_sdwa v33, v20, v39 dst_sel:DWORD dst_unused:UNUSED_PAD src0_sel:DWORD src1_sel:BYTE_1
	global_load_dword v33, v33, s[16:17] offset:1024
	v_lshlrev_b32_sdwa v39, v20, v39 dst_sel:DWORD dst_unused:UNUSED_PAD src0_sel:DWORD src1_sel:BYTE_2
	global_load_dword v39, v39, s[16:17] offset:2048
	v_sub_f16_e32 v8, v6, v8
	global_load_dword v23, v23, s[16:17]
	v_sub_f16_e32 v13, v4, v13
	v_sub_f16_e32 v14, v5, v14
	v_fma_f16 v24, v24, 2.0, -v7
	v_fma_f16 v6, v6, 2.0, -v8
	s_waitcnt vmcnt(15)
	v_mul_f16_sdwa v40, v22, v2 dst_sel:DWORD dst_unused:UNUSED_PAD src0_sel:DWORD src1_sel:WORD_1
	v_fma_f16 v4, v4, 2.0, -v13
	v_fma_f16 v5, v5, 2.0, -v14
	v_sub_f16_e32 v6, v24, v6
	v_fma_f16 v40, v2, v34, -v40
	v_mul_f16_sdwa v34, v34, v2 dst_sel:DWORD dst_unused:UNUSED_PAD src0_sel:DWORD src1_sel:WORD_1
	v_sub_f16_e32 v5, v4, v5
	v_fma_f16 v24, v24, 2.0, -v6
	v_fma_f16 v2, v2, v22, v34
	v_lshlrev_b32_sdwa v34, v20, v41 dst_sel:DWORD dst_unused:UNUSED_PAD src0_sel:DWORD src1_sel:BYTE_0
	v_fma_f16 v4, v4, 2.0, -v5
	v_mul_f16_e32 v22, v24, v2
	v_lshlrev_b32_sdwa v42, v20, v41 dst_sel:DWORD dst_unused:UNUSED_PAD src0_sel:DWORD src1_sel:BYTE_1
	global_load_dword v43, v34, s[16:17]
	global_load_dword v44, v42, s[16:17] offset:1024
	v_add_u32_e32 v34, 0x5b, v19
	v_fma_f16 v22, v4, v40, -v22
	v_mul_f16_e32 v2, v4, v2
	v_lshlrev_b32_sdwa v4, v20, v41 dst_sel:DWORD dst_unused:UNUSED_PAD src0_sel:DWORD src1_sel:BYTE_2
	v_mul_lo_u32 v1, v1, v34
	global_load_dword v4, v4, s[16:17] offset:2048
	v_fma_f16 v2, v24, v40, v2
	v_fma_f16 v9, v9, 2.0, -v18
	v_lshlrev_b32_sdwa v40, v20, v1 dst_sel:DWORD dst_unused:UNUSED_PAD src0_sel:DWORD src1_sel:BYTE_0
	v_lshlrev_b32_sdwa v41, v20, v1 dst_sel:DWORD dst_unused:UNUSED_PAD src0_sel:DWORD src1_sel:BYTE_1
	global_load_dword v42, v40, s[16:17]
	global_load_dword v45, v41, s[16:17] offset:1024
	v_lshlrev_b32_sdwa v1, v20, v1 dst_sel:DWORD dst_unused:UNUSED_PAD src0_sel:DWORD src1_sel:BYTE_2
	global_load_dword v1, v1, s[16:17] offset:2048
	s_waitcnt vmcnt(20)
	v_lshrrev_b32_e32 v24, 16, v28
	s_waitcnt vmcnt(19)
	v_mul_f16_sdwa v34, v24, v29 dst_sel:DWORD dst_unused:UNUSED_PAD src0_sel:DWORD src1_sel:WORD_1
	v_fma_f16 v34, v28, v29, -v34
	v_mul_f16_sdwa v28, v28, v29 dst_sel:DWORD dst_unused:UNUSED_PAD src0_sel:DWORD src1_sel:WORD_1
	v_fma_f16 v20, v24, v29, v28
	v_fma_f16 v17, v17, 2.0, -v10
	v_add_f16_e32 v14, v7, v14
	s_waitcnt vmcnt(18)
	v_mul_f16_sdwa v28, v34, v25 dst_sel:DWORD dst_unused:UNUSED_PAD src0_sel:DWORD src1_sel:WORD_1
	v_mul_f16_sdwa v24, v20, v25 dst_sel:DWORD dst_unused:UNUSED_PAD src0_sel:DWORD src1_sel:WORD_1
	v_fma_f16 v20, v25, v20, v28
	v_fma_f16 v24, v25, v34, -v24
	v_mul_f16_e32 v25, v9, v20
	v_fma_f16 v25, v17, v24, -v25
	v_mul_f16_e32 v17, v17, v20
	v_fma_f16 v9, v9, v24, v17
	s_waitcnt vmcnt(17)
	v_lshrrev_b32_e32 v17, 16, v31
	s_waitcnt vmcnt(16)
	v_mul_f16_sdwa v24, v31, v32 dst_sel:DWORD dst_unused:UNUSED_PAD src0_sel:DWORD src1_sel:WORD_1
	v_mul_f16_sdwa v20, v17, v32 dst_sel:DWORD dst_unused:UNUSED_PAD src0_sel:DWORD src1_sel:WORD_1
	v_fma_f16 v17, v17, v32, v24
	v_fma_f16 v20, v31, v32, -v20
	s_waitcnt vmcnt(15)
	v_mul_f16_sdwa v24, v17, v26 dst_sel:DWORD dst_unused:UNUSED_PAD src0_sel:DWORD src1_sel:WORD_1
	v_fma_f16 v24, v26, v20, -v24
	v_mul_f16_sdwa v20, v20, v26 dst_sel:DWORD dst_unused:UNUSED_PAD src0_sel:DWORD src1_sel:WORD_1
	v_sub_f16_e32 v8, v13, v8
	v_fma_f16 v7, v7, 2.0, -v14
	v_fma_f16 v17, v26, v17, v20
	v_fma_f16 v13, v13, 2.0, -v8
	v_mul_f16_e32 v20, v7, v17
	v_fma_f16 v20, v13, v24, -v20
	v_mul_f16_e32 v13, v13, v17
	v_fma_f16 v7, v7, v24, v13
	s_waitcnt vmcnt(14)
	v_lshrrev_b32_e32 v13, 16, v35
	s_waitcnt vmcnt(13)
	v_mul_f16_sdwa v24, v35, v36 dst_sel:DWORD dst_unused:UNUSED_PAD src0_sel:DWORD src1_sel:WORD_1
	v_mul_f16_sdwa v17, v13, v36 dst_sel:DWORD dst_unused:UNUSED_PAD src0_sel:DWORD src1_sel:WORD_1
	v_fma_f16 v13, v13, v36, v24
	v_fma_f16 v17, v35, v36, -v17
	s_waitcnt vmcnt(12)
	v_mul_f16_sdwa v24, v13, v27 dst_sel:DWORD dst_unused:UNUSED_PAD src0_sel:DWORD src1_sel:WORD_1
	v_fma_f16 v24, v27, v17, -v24
	v_mul_f16_sdwa v17, v17, v27 dst_sel:DWORD dst_unused:UNUSED_PAD src0_sel:DWORD src1_sel:WORD_1
	v_fma_f16 v15, v15, 2.0, -v12
	v_fma_f16 v13, v27, v13, v17
	v_fma_f16 v11, v11, 2.0, -v16
	v_mul_f16_e32 v17, v15, v13
	v_fma_f16 v17, v11, v24, -v17
	v_mul_f16_e32 v11, v11, v13
	v_fma_f16 v11, v15, v24, v11
	s_waitcnt vmcnt(11)
	v_lshrrev_b32_e32 v13, 16, v37
	s_waitcnt vmcnt(10)
	v_mul_f16_sdwa v24, v37, v38 dst_sel:DWORD dst_unused:UNUSED_PAD src0_sel:DWORD src1_sel:WORD_1
	v_mul_f16_sdwa v15, v13, v38 dst_sel:DWORD dst_unused:UNUSED_PAD src0_sel:DWORD src1_sel:WORD_1
	v_fma_f16 v13, v13, v38, v24
	v_fma_f16 v15, v37, v38, -v15
	s_waitcnt vmcnt(9)
	v_mul_f16_sdwa v24, v13, v30 dst_sel:DWORD dst_unused:UNUSED_PAD src0_sel:DWORD src1_sel:WORD_1
	v_fma_f16 v24, v30, v15, -v24
	v_mul_f16_sdwa v15, v15, v30 dst_sel:DWORD dst_unused:UNUSED_PAD src0_sel:DWORD src1_sel:WORD_1
	v_fma_f16 v13, v30, v13, v15
	v_mul_f16_e32 v15, v6, v13
	v_fma_f16 v15, v5, v24, -v15
	v_mul_f16_e32 v5, v5, v13
	v_fma_f16 v5, v6, v24, v5
	s_waitcnt vmcnt(6)
	v_lshrrev_b32_e32 v6, 16, v23
	v_mul_f16_sdwa v13, v6, v33 dst_sel:DWORD dst_unused:UNUSED_PAD src0_sel:DWORD src1_sel:WORD_1
	v_fma_f16 v13, v23, v33, -v13
	v_mul_f16_sdwa v23, v23, v33 dst_sel:DWORD dst_unused:UNUSED_PAD src0_sel:DWORD src1_sel:WORD_1
	v_fma_f16 v6, v6, v33, v23
	v_mul_f16_sdwa v23, v6, v39 dst_sel:DWORD dst_unused:UNUSED_PAD src0_sel:DWORD src1_sel:WORD_1
	v_fma_f16 v23, v39, v13, -v23
	v_mul_f16_sdwa v13, v13, v39 dst_sel:DWORD dst_unused:UNUSED_PAD src0_sel:DWORD src1_sel:WORD_1
	v_fma_f16 v6, v39, v6, v13
	v_mul_f16_e32 v13, v18, v6
	v_mul_f16_e32 v6, v10, v6
	v_fma_f16 v13, v10, v23, -v13
	v_fma_f16 v6, v18, v23, v6
	s_waitcnt vmcnt(5)
	v_lshrrev_b32_e32 v10, 16, v43
	s_waitcnt vmcnt(4)
	v_mul_f16_sdwa v23, v43, v44 dst_sel:DWORD dst_unused:UNUSED_PAD src0_sel:DWORD src1_sel:WORD_1
	v_mul_f16_sdwa v18, v10, v44 dst_sel:DWORD dst_unused:UNUSED_PAD src0_sel:DWORD src1_sel:WORD_1
	v_fma_f16 v10, v10, v44, v23
	v_fma_f16 v18, v43, v44, -v18
	s_waitcnt vmcnt(3)
	v_mul_f16_sdwa v23, v10, v4 dst_sel:DWORD dst_unused:UNUSED_PAD src0_sel:DWORD src1_sel:WORD_1
	v_fma_f16 v23, v4, v18, -v23
	v_mul_f16_sdwa v18, v18, v4 dst_sel:DWORD dst_unused:UNUSED_PAD src0_sel:DWORD src1_sel:WORD_1
	v_fma_f16 v4, v4, v10, v18
	v_mul_f16_e32 v10, v14, v4
	v_fma_f16 v10, v8, v23, -v10
	v_mul_f16_e32 v4, v8, v4
	s_waitcnt vmcnt(2)
	v_lshrrev_b32_e32 v8, 16, v42
	s_waitcnt vmcnt(1)
	v_mul_f16_sdwa v18, v42, v45 dst_sel:DWORD dst_unused:UNUSED_PAD src0_sel:DWORD src1_sel:WORD_1
	v_fma_f16 v4, v14, v23, v4
	v_mul_f16_sdwa v14, v8, v45 dst_sel:DWORD dst_unused:UNUSED_PAD src0_sel:DWORD src1_sel:WORD_1
	v_fma_f16 v8, v8, v45, v18
	s_movk_i32 s2, 0x68
	v_fma_f16 v14, v42, v45, -v14
	s_waitcnt vmcnt(0)
	v_mul_f16_sdwa v18, v8, v1 dst_sel:DWORD dst_unused:UNUSED_PAD src0_sel:DWORD src1_sel:WORD_1
	v_mul_lo_u16_sdwa v0, v0, s2 dst_sel:DWORD dst_unused:UNUSED_PAD src0_sel:WORD_1 src1_sel:DWORD
	v_fma_f16 v18, v1, v14, -v18
	v_mul_f16_sdwa v14, v14, v1 dst_sel:DWORD dst_unused:UNUSED_PAD src0_sel:DWORD src1_sel:WORD_1
	v_add_u32_e32 v0, v0, v19
	v_fma_f16 v1, v1, v8, v14
	v_mul_lo_u32 v14, s8, v0
	v_mul_f16_e32 v8, v12, v1
	v_mul_f16_e32 v1, v16, v1
	v_fma_f16 v1, v12, v18, v1
	v_add_lshl_u32 v12, v3, v14, 2
	v_lshlrev_b32_e32 v14, 2, v21
	v_readfirstlane_b32 s0, v14
	v_add_u32_e32 v14, 13, v0
	v_mul_lo_u32 v14, s8, v14
	v_lshlrev_b32_e32 v2, 16, v2
	v_or_b32_sdwa v2, v2, v22 dst_sel:DWORD dst_unused:UNUSED_PAD src0_sel:DWORD src1_sel:WORD_0
	v_cndmask_b32_e32 v12, -1, v12, vcc
	buffer_store_dword v2, v12, s[20:23], s0 offen
	v_lshlrev_b32_e32 v2, 16, v9
	v_add_lshl_u32 v9, v3, v14, 2
	v_add_u32_e32 v12, 26, v0
	v_or_b32_sdwa v2, v2, v25 dst_sel:DWORD dst_unused:UNUSED_PAD src0_sel:DWORD src1_sel:WORD_0
	v_cndmask_b32_e32 v9, -1, v9, vcc
	v_mul_lo_u32 v12, s8, v12
	buffer_store_dword v2, v9, s[20:23], s0 offen
	v_add_u32_e32 v9, 39, v0
	v_mul_lo_u32 v9, s8, v9
	v_lshlrev_b32_e32 v2, 16, v7
	v_add_lshl_u32 v7, v3, v12, 2
	v_or_b32_sdwa v2, v2, v20 dst_sel:DWORD dst_unused:UNUSED_PAD src0_sel:DWORD src1_sel:WORD_0
	v_cndmask_b32_e32 v7, -1, v7, vcc
	buffer_store_dword v2, v7, s[20:23], s0 offen
	v_add_lshl_u32 v7, v3, v9, 2
	v_add_u32_e32 v9, 52, v0
	v_mul_lo_u32 v9, s8, v9
	v_lshlrev_b32_e32 v2, 16, v11
	v_or_b32_sdwa v2, v2, v17 dst_sel:DWORD dst_unused:UNUSED_PAD src0_sel:DWORD src1_sel:WORD_0
	v_cndmask_b32_e32 v7, -1, v7, vcc
	buffer_store_dword v2, v7, s[20:23], s0 offen
	v_lshlrev_b32_e32 v2, 16, v5
	v_add_lshl_u32 v5, v3, v9, 2
	v_add_u32_e32 v7, 0x41, v0
	v_or_b32_sdwa v2, v2, v15 dst_sel:DWORD dst_unused:UNUSED_PAD src0_sel:DWORD src1_sel:WORD_0
	v_cndmask_b32_e32 v5, -1, v5, vcc
	v_mul_lo_u32 v7, s8, v7
	buffer_store_dword v2, v5, s[20:23], s0 offen
	v_lshlrev_b32_e32 v2, 16, v6
	v_add_u32_e32 v6, 0x4e, v0
	v_add_u32_e32 v0, 0x5b, v0
	v_mul_lo_u32 v6, s8, v6
	v_mul_lo_u32 v0, s8, v0
	v_add_lshl_u32 v5, v3, v7, 2
	v_or_b32_sdwa v2, v2, v13 dst_sel:DWORD dst_unused:UNUSED_PAD src0_sel:DWORD src1_sel:WORD_0
	v_cndmask_b32_e32 v5, -1, v5, vcc
	v_fma_f16 v8, v16, v18, -v8
	buffer_store_dword v2, v5, s[20:23], s0 offen
	v_lshlrev_b32_e32 v2, 16, v4
	v_add_lshl_u32 v4, v3, v6, 2
	v_lshlrev_b32_e32 v1, 16, v1
	v_add_lshl_u32 v0, v3, v0, 2
	v_or_b32_sdwa v2, v2, v10 dst_sel:DWORD dst_unused:UNUSED_PAD src0_sel:DWORD src1_sel:WORD_0
	v_cndmask_b32_e32 v4, -1, v4, vcc
	v_or_b32_sdwa v1, v1, v8 dst_sel:DWORD dst_unused:UNUSED_PAD src0_sel:DWORD src1_sel:WORD_0
	v_cndmask_b32_e32 v0, -1, v0, vcc
	buffer_store_dword v2, v4, s[20:23], s0 offen
	buffer_store_dword v1, v0, s[20:23], s0 offen
	s_endpgm
	.section	.rodata,"a",@progbits
	.p2align	6, 0x0
	.amdhsa_kernel fft_rtc_fwd_len104_factors_13_8_wgs_208_tpt_13_half_op_CI_CI_sbcc_twdbase8_3step_dirReg_intrinsicReadWrite
		.amdhsa_group_segment_fixed_size 0
		.amdhsa_private_segment_fixed_size 0
		.amdhsa_kernarg_size 112
		.amdhsa_user_sgpr_count 6
		.amdhsa_user_sgpr_private_segment_buffer 1
		.amdhsa_user_sgpr_dispatch_ptr 0
		.amdhsa_user_sgpr_queue_ptr 0
		.amdhsa_user_sgpr_kernarg_segment_ptr 1
		.amdhsa_user_sgpr_dispatch_id 0
		.amdhsa_user_sgpr_flat_scratch_init 0
		.amdhsa_user_sgpr_private_segment_size 0
		.amdhsa_uses_dynamic_stack 0
		.amdhsa_system_sgpr_private_segment_wavefront_offset 0
		.amdhsa_system_sgpr_workgroup_id_x 1
		.amdhsa_system_sgpr_workgroup_id_y 0
		.amdhsa_system_sgpr_workgroup_id_z 0
		.amdhsa_system_sgpr_workgroup_info 0
		.amdhsa_system_vgpr_workitem_id 0
		.amdhsa_next_free_vgpr 68
		.amdhsa_next_free_sgpr 50
		.amdhsa_reserve_vcc 1
		.amdhsa_reserve_flat_scratch 0
		.amdhsa_float_round_mode_32 0
		.amdhsa_float_round_mode_16_64 0
		.amdhsa_float_denorm_mode_32 3
		.amdhsa_float_denorm_mode_16_64 3
		.amdhsa_dx10_clamp 1
		.amdhsa_ieee_mode 1
		.amdhsa_fp16_overflow 0
		.amdhsa_exception_fp_ieee_invalid_op 0
		.amdhsa_exception_fp_denorm_src 0
		.amdhsa_exception_fp_ieee_div_zero 0
		.amdhsa_exception_fp_ieee_overflow 0
		.amdhsa_exception_fp_ieee_underflow 0
		.amdhsa_exception_fp_ieee_inexact 0
		.amdhsa_exception_int_div_zero 0
	.end_amdhsa_kernel
	.text
.Lfunc_end0:
	.size	fft_rtc_fwd_len104_factors_13_8_wgs_208_tpt_13_half_op_CI_CI_sbcc_twdbase8_3step_dirReg_intrinsicReadWrite, .Lfunc_end0-fft_rtc_fwd_len104_factors_13_8_wgs_208_tpt_13_half_op_CI_CI_sbcc_twdbase8_3step_dirReg_intrinsicReadWrite
                                        ; -- End function
	.section	.AMDGPU.csdata,"",@progbits
; Kernel info:
; codeLenInByte = 7248
; NumSgprs: 54
; NumVgprs: 68
; ScratchSize: 0
; MemoryBound: 0
; FloatMode: 240
; IeeeMode: 1
; LDSByteSize: 0 bytes/workgroup (compile time only)
; SGPRBlocks: 6
; VGPRBlocks: 16
; NumSGPRsForWavesPerEU: 54
; NumVGPRsForWavesPerEU: 68
; Occupancy: 3
; WaveLimiterHint : 0
; COMPUTE_PGM_RSRC2:SCRATCH_EN: 0
; COMPUTE_PGM_RSRC2:USER_SGPR: 6
; COMPUTE_PGM_RSRC2:TRAP_HANDLER: 0
; COMPUTE_PGM_RSRC2:TGID_X_EN: 1
; COMPUTE_PGM_RSRC2:TGID_Y_EN: 0
; COMPUTE_PGM_RSRC2:TGID_Z_EN: 0
; COMPUTE_PGM_RSRC2:TIDIG_COMP_CNT: 0
	.type	__hip_cuid_d3ed08ddd003115f,@object ; @__hip_cuid_d3ed08ddd003115f
	.section	.bss,"aw",@nobits
	.globl	__hip_cuid_d3ed08ddd003115f
__hip_cuid_d3ed08ddd003115f:
	.byte	0                               ; 0x0
	.size	__hip_cuid_d3ed08ddd003115f, 1

	.ident	"AMD clang version 19.0.0git (https://github.com/RadeonOpenCompute/llvm-project roc-6.4.0 25133 c7fe45cf4b819c5991fe208aaa96edf142730f1d)"
	.section	".note.GNU-stack","",@progbits
	.addrsig
	.addrsig_sym __hip_cuid_d3ed08ddd003115f
	.amdgpu_metadata
---
amdhsa.kernels:
  - .args:
      - .actual_access:  read_only
        .address_space:  global
        .offset:         0
        .size:           8
        .value_kind:     global_buffer
      - .address_space:  global
        .offset:         8
        .size:           8
        .value_kind:     global_buffer
      - .offset:         16
        .size:           8
        .value_kind:     by_value
      - .actual_access:  read_only
        .address_space:  global
        .offset:         24
        .size:           8
        .value_kind:     global_buffer
      - .actual_access:  read_only
        .address_space:  global
        .offset:         32
        .size:           8
        .value_kind:     global_buffer
      - .actual_access:  read_only
        .address_space:  global
        .offset:         40
        .size:           8
        .value_kind:     global_buffer
      - .offset:         48
        .size:           8
        .value_kind:     by_value
      - .actual_access:  read_only
        .address_space:  global
        .offset:         56
        .size:           8
        .value_kind:     global_buffer
      - .actual_access:  read_only
        .address_space:  global
        .offset:         64
        .size:           8
        .value_kind:     global_buffer
      - .offset:         72
        .size:           4
        .value_kind:     by_value
      - .actual_access:  read_only
        .address_space:  global
        .offset:         80
        .size:           8
        .value_kind:     global_buffer
      - .actual_access:  read_only
        .address_space:  global
        .offset:         88
        .size:           8
        .value_kind:     global_buffer
      - .address_space:  global
        .offset:         96
        .size:           8
        .value_kind:     global_buffer
      - .address_space:  global
        .offset:         104
        .size:           8
        .value_kind:     global_buffer
    .group_segment_fixed_size: 0
    .kernarg_segment_align: 8
    .kernarg_segment_size: 112
    .language:       OpenCL C
    .language_version:
      - 2
      - 0
    .max_flat_workgroup_size: 208
    .name:           fft_rtc_fwd_len104_factors_13_8_wgs_208_tpt_13_half_op_CI_CI_sbcc_twdbase8_3step_dirReg_intrinsicReadWrite
    .private_segment_fixed_size: 0
    .sgpr_count:     54
    .sgpr_spill_count: 0
    .symbol:         fft_rtc_fwd_len104_factors_13_8_wgs_208_tpt_13_half_op_CI_CI_sbcc_twdbase8_3step_dirReg_intrinsicReadWrite.kd
    .uniform_work_group_size: 1
    .uses_dynamic_stack: false
    .vgpr_count:     68
    .vgpr_spill_count: 0
    .wavefront_size: 64
amdhsa.target:   amdgcn-amd-amdhsa--gfx906
amdhsa.version:
  - 1
  - 2
...

	.end_amdgpu_metadata
